;; amdgpu-corpus repo=ROCm/rocFFT kind=compiled arch=gfx906 opt=O3
	.text
	.amdgcn_target "amdgcn-amd-amdhsa--gfx906"
	.amdhsa_code_object_version 6
	.protected	bluestein_single_fwd_len33_dim1_sp_op_CI_CI ; -- Begin function bluestein_single_fwd_len33_dim1_sp_op_CI_CI
	.globl	bluestein_single_fwd_len33_dim1_sp_op_CI_CI
	.p2align	8
	.type	bluestein_single_fwd_len33_dim1_sp_op_CI_CI,@function
bluestein_single_fwd_len33_dim1_sp_op_CI_CI: ; @bluestein_single_fwd_len33_dim1_sp_op_CI_CI
; %bb.0:
	v_mul_u32_u24_e32 v1, 0x1746, v0
	s_load_dwordx4 s[0:3], s[4:5], 0x28
	v_lshrrev_b32_e32 v1, 16, v1
	v_mad_u64_u32 v[36:37], s[6:7], s6, 23, v[1:2]
	v_mov_b32_e32 v37, 0
	s_waitcnt lgkmcnt(0)
	v_cmp_gt_u64_e32 vcc, s[0:1], v[36:37]
	s_and_saveexec_b64 s[0:1], vcc
	s_cbranch_execz .LBB0_15
; %bb.1:
	s_mov_b32 s0, 0xb21642c9
	v_mul_hi_u32 v2, v36, s0
	s_load_dwordx2 s[6:7], s[4:5], 0x0
	s_load_dwordx2 s[12:13], s[4:5], 0x38
	v_mul_lo_u16_e32 v1, 11, v1
	v_sub_u16_e32 v42, v0, v1
	v_lshrrev_b32_e32 v2, 4, v2
	v_mul_lo_u32 v2, v2, 23
	v_cmp_gt_u16_e32 vcc, 3, v42
	v_lshlrev_b32_e32 v40, 3, v42
	v_or_b32_e32 v41, 12, v42
	v_sub_u32_e32 v0, v36, v2
	v_mul_u32_u24_e32 v43, 33, v0
	v_lshlrev_b32_e32 v44, 3, v43
	v_or_b32_e32 v39, 24, v42
	s_and_saveexec_b64 s[14:15], vcc
	s_cbranch_execz .LBB0_3
; %bb.2:
	s_load_dwordx2 s[0:1], s[4:5], 0x18
	s_waitcnt lgkmcnt(0)
	s_load_dwordx4 s[8:11], s[0:1], 0x0
	global_load_dwordx2 v[10:11], v40, s[6:7]
	global_load_dwordx2 v[12:13], v40, s[6:7] offset:24
	global_load_dwordx2 v[14:15], v40, s[6:7] offset:48
	;; [unrolled: 1-line block ×3, first 2 shown]
	s_waitcnt lgkmcnt(0)
	v_mad_u64_u32 v[0:1], s[0:1], s10, v36, 0
	v_mad_u64_u32 v[2:3], s[0:1], s8, v42, 0
	s_mul_i32 s10, s9, 48
	v_mad_u64_u32 v[4:5], s[0:1], s11, v36, v[1:2]
	v_mad_u64_u32 v[5:6], s[0:1], s9, v42, v[3:4]
	v_mov_b32_e32 v1, v4
	v_lshlrev_b64 v[0:1], 3, v[0:1]
	v_mov_b32_e32 v3, v5
	v_mov_b32_e32 v6, s3
	v_lshlrev_b64 v[2:3], 3, v[2:3]
	v_add_co_u32_e64 v35, s[0:1], s2, v0
	v_addc_co_u32_e64 v47, s[0:1], v6, v1, s[0:1]
	v_add_co_u32_e64 v0, s[0:1], v35, v2
	v_addc_co_u32_e64 v1, s[0:1], v47, v3, s[0:1]
	s_mul_i32 s0, s9, 24
	s_mul_hi_u32 s3, s8, 24
	s_mul_i32 s2, s8, 24
	s_add_i32 s3, s3, s0
	v_mov_b32_e32 v3, s3
	v_add_co_u32_e64 v2, s[0:1], s2, v0
	v_addc_co_u32_e64 v3, s[0:1], v1, v3, s[0:1]
	v_mov_b32_e32 v5, s3
	v_add_co_u32_e64 v4, s[0:1], s2, v2
	v_addc_co_u32_e64 v5, s[0:1], v3, v5, s[0:1]
	v_mov_b32_e32 v7, s3
	v_add_co_u32_e64 v6, s[0:1], s2, v4
	v_addc_co_u32_e64 v7, s[0:1], v5, v7, s[0:1]
	v_mad_u64_u32 v[8:9], s[0:1], s8, v41, 0
	v_mov_b32_e32 v45, s3
	s_waitcnt vmcnt(3)
	v_mad_u64_u32 v[18:19], s[0:1], s9, v41, v[9:10]
	global_load_dwordx2 v[19:20], v[0:1], off
	global_load_dwordx2 v[21:22], v[2:3], off
	global_load_dwordx2 v[23:24], v[4:5], off
	global_load_dwordx2 v[25:26], v[6:7], off
	v_mov_b32_e32 v9, v18
	v_lshlrev_b64 v[0:1], 3, v[8:9]
	v_mov_b32_e32 v18, s3
	v_add_co_u32_e64 v0, s[0:1], v35, v0
	v_addc_co_u32_e64 v1, s[0:1], v47, v1, s[0:1]
	v_mad_u64_u32 v[2:3], s[0:1], s8, 48, v[6:7]
	v_mad_u64_u32 v[31:32], s[0:1], s8, v39, 0
	v_add_u32_e32 v3, s10, v3
	global_load_dwordx2 v[0:1], v[0:1], off
	s_nop 0
	global_load_dwordx2 v[4:5], v40, s[6:7] offset:96
	global_load_dwordx2 v[6:7], v40, s[6:7] offset:120
	;; [unrolled: 1-line block ×4, first 2 shown]
	global_load_dwordx2 v[29:30], v[2:3], off
	v_add_co_u32_e64 v2, s[0:1], s2, v2
	v_addc_co_u32_e64 v3, s[0:1], v3, v18, s[0:1]
	v_mov_b32_e32 v18, v32
	global_load_dwordx2 v[33:34], v[2:3], off
	s_waitcnt vmcnt(10)
	v_mad_u64_u32 v[37:38], s[0:1], s9, v39, v[18:19]
	v_add_co_u32_e64 v2, s[0:1], s2, v2
	v_mov_b32_e32 v32, v37
	v_lshlrev_b64 v[31:32], 3, v[31:32]
	v_addc_co_u32_e64 v3, s[0:1], v3, v45, s[0:1]
	v_add_co_u32_e64 v31, s[0:1], v35, v31
	global_load_dwordx2 v[45:46], v[2:3], off
	v_addc_co_u32_e64 v32, s[0:1], v47, v32, s[0:1]
	v_mad_u64_u32 v[2:3], s[0:1], s8, 48, v[2:3]
	global_load_dwordx2 v[31:32], v[31:32], off
	s_nop 0
	global_load_dwordx2 v[37:38], v40, s[6:7] offset:192
	global_load_dwordx2 v[47:48], v40, s[6:7] offset:216
	global_load_dwordx2 v[49:50], v40, s[6:7] offset:240
	v_add_u32_e32 v3, s10, v3
	v_mov_b32_e32 v18, s3
	global_load_dwordx2 v[51:52], v[2:3], off
	v_add_co_u32_e64 v2, s[0:1], s2, v2
	v_addc_co_u32_e64 v3, s[0:1], v3, v18, s[0:1]
	global_load_dwordx2 v[2:3], v[2:3], off
	v_mul_f32_e32 v18, v19, v11
	v_mul_f32_e32 v53, v20, v11
	v_fma_f32 v54, v20, v10, -v18
	v_fmac_f32_e32 v53, v19, v10
	s_waitcnt vmcnt(12)
	v_mul_f32_e32 v10, v0, v5
	v_fma_f32 v11, v1, v4, -v10
	v_mul_f32_e32 v10, v1, v5
	v_fmac_f32_e32 v10, v0, v4
	v_mul_f32_e32 v0, v21, v13
	v_fma_f32 v1, v22, v12, -v0
	v_mul_f32_e32 v0, v22, v13
	v_mul_f32_e32 v4, v23, v15
	v_fmac_f32_e32 v0, v21, v12
	v_fma_f32 v5, v24, v14, -v4
	v_mul_f32_e32 v4, v24, v15
	v_lshl_add_u32 v12, v42, 3, v44
	v_fmac_f32_e32 v4, v23, v14
	ds_write_b64 v12, v[53:54]
	v_add_u32_e32 v12, v44, v40
	ds_write2_b64 v12, v[0:1], v[4:5] offset0:3 offset1:6
	v_mul_f32_e32 v0, v25, v17
	v_fma_f32 v1, v26, v16, -v0
	v_mul_f32_e32 v0, v26, v17
	v_fmac_f32_e32 v0, v25, v16
	ds_write2_b64 v12, v[0:1], v[10:11] offset0:9 offset1:12
	s_waitcnt vmcnt(8)
	v_mul_f32_e32 v0, v29, v7
	s_waitcnt vmcnt(7)
	v_mul_f32_e32 v4, v33, v9
	v_fma_f32 v1, v30, v6, -v0
	v_mul_f32_e32 v0, v30, v7
	v_fma_f32 v5, v34, v8, -v4
	v_mul_f32_e32 v4, v34, v9
	v_fmac_f32_e32 v0, v29, v6
	v_fmac_f32_e32 v4, v33, v8
	ds_write2_b64 v12, v[0:1], v[4:5] offset0:15 offset1:18
	s_waitcnt vmcnt(6)
	v_mul_f32_e32 v0, v45, v28
	v_fma_f32 v1, v46, v27, -v0
	v_mul_f32_e32 v0, v46, v28
	v_fmac_f32_e32 v0, v45, v27
	s_waitcnt vmcnt(4)
	v_mul_f32_e32 v4, v31, v38
	v_fma_f32 v5, v32, v37, -v4
	v_mul_f32_e32 v4, v32, v38
	v_fmac_f32_e32 v4, v31, v37
	ds_write2_b64 v12, v[0:1], v[4:5] offset0:21 offset1:24
	s_waitcnt vmcnt(1)
	v_mul_f32_e32 v0, v52, v48
	v_mul_f32_e32 v1, v51, v48
	v_fmac_f32_e32 v0, v51, v47
	v_fma_f32 v1, v52, v47, -v1
	s_waitcnt vmcnt(0)
	v_mul_f32_e32 v4, v3, v50
	v_fmac_f32_e32 v4, v2, v49
	v_mul_f32_e32 v2, v2, v50
	v_fma_f32 v5, v3, v49, -v2
	ds_write2_b64 v12, v[0:1], v[4:5] offset0:27 offset1:30
.LBB0_3:
	s_or_b64 exec, exec, s[14:15]
	s_load_dwordx2 s[0:1], s[4:5], 0x20
	s_load_dwordx2 s[8:9], s[4:5], 0x8
	v_mov_b32_e32 v8, 0
	v_mov_b32_e32 v9, 0
	s_waitcnt lgkmcnt(0)
	s_barrier
	s_waitcnt lgkmcnt(0)
                                        ; implicit-def: $vgpr13
                                        ; implicit-def: $vgpr5
                                        ; implicit-def: $vgpr31
                                        ; implicit-def: $vgpr23
                                        ; implicit-def: $vgpr18
	s_and_saveexec_b64 s[2:3], vcc
	s_cbranch_execz .LBB0_5
; %bb.4:
	v_lshl_add_u32 v0, v43, 3, v40
	ds_read2_b64 v[8:11], v0 offset1:3
	ds_read2_b64 v[16:19], v0 offset0:6 offset1:9
	ds_read2_b64 v[12:15], v0 offset0:12 offset1:15
	;; [unrolled: 1-line block ×4, first 2 shown]
	ds_read_b64 v[4:5], v0 offset:240
.LBB0_5:
	s_or_b64 exec, exec, s[2:3]
	s_waitcnt lgkmcnt(0)
	v_sub_f32_e32 v1, v11, v5
	v_mul_f32_e32 v46, 0xbf0a6770, v1
	v_sub_f32_e32 v58, v17, v31
	v_add_f32_e32 v49, v4, v10
	v_sub_f32_e32 v0, v10, v4
	v_mov_b32_e32 v2, v46
	v_mul_f32_e32 v52, 0xbf68dda4, v58
	v_add_f32_e32 v50, v5, v11
	s_mov_b32 s5, 0x3f575c64
	v_mul_f32_e32 v47, 0xbf0a6770, v0
	v_fmac_f32_e32 v2, 0x3f575c64, v49
	v_add_f32_e32 v55, v30, v16
	v_sub_f32_e32 v45, v16, v30
	v_mov_b32_e32 v54, v52
	v_add_f32_e32 v2, v2, v8
	v_fma_f32 v3, v50, s5, -v47
	s_mov_b32 s3, 0x3ed4b147
	v_add_f32_e32 v56, v31, v17
	v_mul_f32_e32 v53, 0xbf68dda4, v45
	v_fmac_f32_e32 v54, 0x3ed4b147, v55
	v_add_f32_e32 v3, v3, v9
	v_mul_f32_e32 v48, 0xbf68dda4, v1
	v_add_f32_e32 v2, v54, v2
	v_fma_f32 v54, v56, s3, -v53
	v_mov_b32_e32 v6, v48
	v_add_f32_e32 v3, v54, v3
	v_mul_f32_e32 v54, 0xbf4178ce, v58
	v_mul_f32_e32 v51, 0xbf68dda4, v0
	v_fmac_f32_e32 v6, 0x3ed4b147, v49
	v_mov_b32_e32 v59, v54
	v_add_f32_e32 v6, v6, v8
	v_fma_f32 v7, v50, s3, -v51
	s_mov_b32 s4, 0xbf27a4f4
	v_mul_f32_e32 v57, 0xbf4178ce, v45
	v_fmac_f32_e32 v59, 0xbf27a4f4, v55
	v_add_f32_e32 v7, v7, v9
	v_mul_f32_e32 v24, 0xbf7d64f0, v1
	s_mov_b32 s2, 0xbe11bafb
	v_add_f32_e32 v6, v59, v6
	v_fma_f32 v59, v56, s4, -v57
	v_fma_f32 v25, v49, s2, -v24
	s_mov_b32 s10, 0xbf75a155
	v_add_f32_e32 v7, v59, v7
	v_mul_f32_e32 v59, 0x3e903f40, v58
	v_add_f32_e32 v25, v25, v8
	v_mul_f32_e32 v26, 0xbf7d64f0, v0
	v_fmac_f32_e32 v24, 0xbe11bafb, v49
	v_fma_f32 v60, v55, s10, -v59
	v_mov_b32_e32 v27, v26
	v_add_f32_e32 v24, v24, v8
	v_fma_f32 v26, v50, s2, -v26
	v_add_f32_e32 v25, v60, v25
	v_mul_f32_e32 v60, 0x3e903f40, v45
	v_fmac_f32_e32 v59, 0xbf75a155, v55
	v_add_f32_e32 v26, v26, v9
	v_mul_f32_e32 v32, 0xbf4178ce, v1
	v_add_f32_e32 v24, v59, v24
	v_fma_f32 v59, v56, s10, -v60
	v_fma_f32 v33, v49, s4, -v32
	v_add_f32_e32 v26, v59, v26
	v_mul_f32_e32 v59, 0x3f7d64f0, v58
	v_add_f32_e32 v33, v33, v8
	v_mul_f32_e32 v34, 0xbf4178ce, v0
	v_fmac_f32_e32 v32, 0xbf27a4f4, v49
	v_mov_b32_e32 v61, v60
	v_fma_f32 v60, v55, s2, -v59
	v_fmac_f32_e32 v27, 0xbe11bafb, v50
	v_mov_b32_e32 v35, v34
	v_add_f32_e32 v32, v32, v8
	v_fma_f32 v34, v50, s4, -v34
	v_mul_f32_e32 v1, 0xbe903f40, v1
	v_add_f32_e32 v33, v60, v33
	v_mul_f32_e32 v60, 0x3f7d64f0, v45
	v_fmac_f32_e32 v59, 0xbe11bafb, v55
	v_add_f32_e32 v27, v27, v9
	v_add_f32_e32 v34, v34, v9
	v_fma_f32 v37, v49, s10, -v1
	v_mul_f32_e32 v0, 0xbe903f40, v0
	v_fmac_f32_e32 v1, 0xbf75a155, v49
	v_fmac_f32_e32 v61, 0xbf75a155, v56
	v_add_f32_e32 v32, v59, v32
	v_fma_f32 v59, v56, s2, -v60
	v_mul_f32_e32 v58, 0x3f0a6770, v58
	v_fmac_f32_e32 v35, 0xbf27a4f4, v50
	v_add_f32_e32 v37, v37, v8
	v_mov_b32_e32 v38, v0
	v_add_f32_e32 v1, v1, v8
	v_fma_f32 v0, v50, s10, -v0
	v_add_f32_e32 v27, v61, v27
	v_mov_b32_e32 v61, v60
	v_add_f32_e32 v34, v59, v34
	v_fma_f32 v59, v55, s5, -v58
	v_mul_f32_e32 v45, 0x3f0a6770, v45
	v_fmac_f32_e32 v58, 0x3f575c64, v55
	v_sub_f32_e32 v64, v19, v29
	v_add_f32_e32 v35, v35, v9
	v_fmac_f32_e32 v38, 0xbf75a155, v50
	v_add_f32_e32 v0, v0, v9
	v_fmac_f32_e32 v61, 0xbe11bafb, v56
	v_add_f32_e32 v37, v59, v37
	v_mov_b32_e32 v59, v45
	v_add_f32_e32 v1, v58, v1
	v_fma_f32 v45, v56, s5, -v45
	v_mul_f32_e32 v58, 0xbf7d64f0, v64
	v_add_f32_e32 v38, v38, v9
	v_add_f32_e32 v35, v61, v35
	v_fmac_f32_e32 v59, 0x3f575c64, v56
	v_add_f32_e32 v0, v45, v0
	v_add_f32_e32 v60, v28, v18
	v_sub_f32_e32 v45, v18, v28
	v_mov_b32_e32 v61, v58
	v_add_f32_e32 v38, v59, v38
	v_add_f32_e32 v62, v29, v19
	v_mul_f32_e32 v59, 0xbf7d64f0, v45
	v_fmac_f32_e32 v61, 0xbe11bafb, v60
	v_add_f32_e32 v2, v61, v2
	v_fma_f32 v61, v62, s2, -v59
	v_add_f32_e32 v3, v61, v3
	v_mul_f32_e32 v61, 0x3e903f40, v64
	v_mov_b32_e32 v65, v61
	v_mul_f32_e32 v63, 0x3e903f40, v45
	v_fmac_f32_e32 v65, 0xbf75a155, v60
	v_add_f32_e32 v6, v65, v6
	v_fma_f32 v65, v62, s10, -v63
	v_add_f32_e32 v7, v65, v7
	v_mul_f32_e32 v65, 0x3f68dda4, v64
	v_fma_f32 v66, v60, s3, -v65
	v_add_f32_e32 v25, v66, v25
	v_mul_f32_e32 v66, 0x3f68dda4, v45
	v_fmac_f32_e32 v65, 0x3ed4b147, v60
	v_add_f32_e32 v24, v65, v24
	v_fma_f32 v65, v62, s3, -v66
	v_add_f32_e32 v26, v65, v26
	v_mul_f32_e32 v65, 0xbf0a6770, v64
	v_mov_b32_e32 v67, v66
	v_fma_f32 v66, v60, s5, -v65
	v_add_f32_e32 v33, v66, v33
	v_mul_f32_e32 v66, 0xbf0a6770, v45
	v_fmac_f32_e32 v65, 0x3f575c64, v60
	v_add_f32_e32 v32, v65, v32
	v_fma_f32 v65, v62, s5, -v66
	v_mul_f32_e32 v64, 0xbf4178ce, v64
	v_add_f32_e32 v34, v65, v34
	v_fma_f32 v65, v60, s4, -v64
	v_mul_f32_e32 v45, 0xbf4178ce, v45
	v_fmac_f32_e32 v67, 0x3ed4b147, v62
	v_add_f32_e32 v37, v65, v37
	v_mov_b32_e32 v65, v45
	v_fma_f32 v45, v62, s4, -v45
	v_add_f32_e32 v27, v67, v27
	v_mov_b32_e32 v67, v66
	v_fmac_f32_e32 v64, 0xbf27a4f4, v60
	v_add_f32_e32 v0, v45, v0
	v_add_f32_e32 v45, v12, v22
	v_fmac_f32_e32 v67, 0x3f575c64, v62
	v_add_f32_e32 v1, v64, v1
	v_mul_f32_e32 v64, 0xbf27a4f4, v45
	v_add_f32_e32 v35, v67, v35
	v_fmac_f32_e32 v65, 0xbf27a4f4, v62
	v_sub_f32_e32 v70, v12, v22
	v_sub_f32_e32 v67, v13, v23
	v_mov_b32_e32 v68, v64
	v_add_f32_e32 v38, v65, v38
	v_add_f32_e32 v66, v13, v23
	v_mul_f32_e32 v65, 0xbf4178ce, v70
	v_fmac_f32_e32 v68, 0xbf4178ce, v67
	v_add_f32_e32 v2, v68, v2
	v_fma_f32 v68, v66, s4, -v65
	v_add_f32_e32 v3, v68, v3
	v_mul_f32_e32 v68, 0xbe11bafb, v45
	v_mov_b32_e32 v71, v68
	v_mul_f32_e32 v69, 0x3f7d64f0, v70
	v_fmac_f32_e32 v71, 0x3f7d64f0, v67
	v_add_f32_e32 v6, v71, v6
	v_fma_f32 v71, v66, s2, -v69
	v_add_f32_e32 v7, v71, v7
	v_mul_f32_e32 v71, 0x3f575c64, v45
	v_mov_b32_e32 v72, v71
	v_fmac_f32_e32 v72, 0x3f0a6770, v67
	v_add_f32_e32 v25, v72, v25
	v_mul_f32_e32 v72, 0xbf0a6770, v70
	v_fmac_f32_e32 v71, 0xbf0a6770, v67
	v_add_f32_e32 v24, v71, v24
	v_fma_f32 v71, v66, s5, -v72
	v_add_f32_e32 v26, v71, v26
	v_mul_f32_e32 v71, 0xbf75a155, v45
	v_mov_b32_e32 v73, v72
	v_mov_b32_e32 v72, v71
	v_fmac_f32_e32 v72, 0x3e903f40, v67
	v_add_f32_e32 v33, v72, v33
	v_mul_f32_e32 v72, 0xbe903f40, v70
	v_fmac_f32_e32 v71, 0xbe903f40, v67
	v_add_f32_e32 v32, v71, v32
	v_fma_f32 v71, v66, s10, -v72
	v_add_f32_e32 v76, v71, v34
	v_mul_f32_e32 v34, 0x3ed4b147, v45
	v_mov_b32_e32 v45, v34
	v_fmac_f32_e32 v45, 0xbf68dda4, v67
	v_add_f32_e32 v45, v45, v37
	v_mul_f32_e32 v37, 0x3f68dda4, v70
	v_fmac_f32_e32 v73, 0x3f575c64, v66
	v_mov_b32_e32 v70, v37
	v_add_f32_e32 v27, v73, v27
	v_mov_b32_e32 v73, v72
	v_fmac_f32_e32 v70, 0x3ed4b147, v66
	v_fmac_f32_e32 v34, 0x3f68dda4, v67
	v_add_f32_e32 v80, v14, v20
	v_fmac_f32_e32 v73, 0xbf75a155, v66
	v_add_f32_e32 v77, v70, v38
	v_add_f32_e32 v78, v34, v1
	v_fma_f32 v1, v66, s3, -v37
	v_mul_f32_e32 v70, 0xbf75a155, v80
	v_add_f32_e32 v35, v73, v35
	v_add_f32_e32 v79, v1, v0
	v_sub_f32_e32 v81, v14, v20
	v_sub_f32_e32 v73, v15, v21
	v_mov_b32_e32 v0, v70
	v_add_f32_e32 v72, v15, v21
	v_mul_f32_e32 v71, 0xbe903f40, v81
	v_fmac_f32_e32 v0, 0xbe903f40, v73
	v_add_f32_e32 v37, v0, v2
	v_fma_f32 v0, v72, s10, -v71
	v_mul_f32_e32 v74, 0x3f575c64, v80
	v_add_f32_e32 v38, v0, v3
	v_mov_b32_e32 v0, v74
	v_mul_f32_e32 v75, 0x3f0a6770, v81
	v_fmac_f32_e32 v0, 0x3f0a6770, v73
	v_add_f32_e32 v2, v0, v6
	v_fma_f32 v0, v72, s5, -v75
	v_add_f32_e32 v3, v0, v7
	v_mul_f32_e32 v0, 0xbf27a4f4, v80
	v_mov_b32_e32 v1, v0
	v_fmac_f32_e32 v1, 0x3f4178ce, v73
	v_add_f32_e32 v6, v1, v25
	v_mul_f32_e32 v1, 0xbf4178ce, v81
	v_mov_b32_e32 v7, v1
	v_fma_f32 v1, v72, s4, -v1
	v_fmac_f32_e32 v7, 0xbf27a4f4, v72
	v_fmac_f32_e32 v0, 0xbf4178ce, v73
	v_add_f32_e32 v1, v1, v26
	v_mul_f32_e32 v26, 0x3ed4b147, v80
	v_add_f32_e32 v7, v7, v27
	v_add_f32_e32 v0, v0, v24
	v_mov_b32_e32 v24, v26
	v_mul_f32_e32 v27, 0x3f68dda4, v81
	v_fmac_f32_e32 v24, 0xbf68dda4, v73
	v_mov_b32_e32 v25, v27
	v_fmac_f32_e32 v26, 0x3f68dda4, v73
	v_add_f32_e32 v24, v24, v33
	v_fmac_f32_e32 v25, 0x3ed4b147, v72
	v_add_f32_e32 v34, v26, v32
	v_fma_f32 v26, v72, s3, -v27
	v_mul_f32_e32 v32, 0xbe11bafb, v80
	v_mul_f32_e32 v33, 0xbf7d64f0, v81
	v_add_f32_e32 v25, v25, v35
	v_add_f32_e32 v35, v26, v76
	v_mov_b32_e32 v26, v32
	v_mov_b32_e32 v27, v33
	v_fmac_f32_e32 v26, 0x3f7d64f0, v73
	v_fmac_f32_e32 v27, 0xbe11bafb, v72
	;; [unrolled: 1-line block ×3, first 2 shown]
	v_fma_f32 v33, v72, s2, -v33
	v_add_f32_e32 v26, v26, v45
	v_add_f32_e32 v27, v27, v77
	;; [unrolled: 1-line block ×4, first 2 shown]
	v_mul_lo_u16_e32 v45, 11, v42
	s_barrier
	s_and_saveexec_b64 s[2:3], vcc
	s_cbranch_execz .LBB0_7
; %bb.6:
	v_mul_f32_e32 v76, 0x3ed4b147, v50
	v_add_f32_e32 v51, v51, v76
	v_mul_f32_e32 v76, 0xbf27a4f4, v56
	v_add_f32_e32 v57, v57, v76
	v_mul_f32_e32 v76, 0x3f575c64, v49
	v_mul_f32_e32 v50, 0x3f575c64, v50
	;; [unrolled: 1-line block ×3, first 2 shown]
	v_add_f32_e32 v51, v51, v9
	v_add_f32_e32 v51, v57, v51
	v_mul_f32_e32 v57, 0xbf75a155, v62
	v_sub_f32_e32 v48, v49, v48
	v_add_f32_e32 v47, v47, v50
	v_sub_f32_e32 v46, v76, v46
	v_add_f32_e32 v57, v63, v57
	v_mul_f32_e32 v56, 0x3ed4b147, v56
	v_add_f32_e32 v48, v48, v8
	v_add_f32_e32 v47, v47, v9
	;; [unrolled: 1-line block ×6, first 2 shown]
	v_mul_f32_e32 v57, 0xbe11bafb, v66
	v_mul_f32_e32 v62, 0xbe11bafb, v62
	v_add_f32_e32 v50, v53, v56
	v_add_f32_e32 v9, v17, v9
	;; [unrolled: 1-line block ×4, first 2 shown]
	v_mul_f32_e32 v66, 0xbf27a4f4, v66
	v_add_f32_e32 v47, v50, v47
	v_add_f32_e32 v50, v59, v62
	;; [unrolled: 1-line block ×5, first 2 shown]
	v_mul_f32_e32 v57, 0x3f575c64, v72
	v_mul_f32_e32 v72, 0xbf75a155, v72
	v_add_f32_e32 v47, v50, v47
	v_add_f32_e32 v50, v66, v65
	;; [unrolled: 1-line block ×4, first 2 shown]
	v_mul_f32_e32 v63, 0x3ed4b147, v55
	v_add_f32_e32 v47, v50, v47
	v_add_f32_e32 v50, v72, v71
	;; [unrolled: 1-line block ×4, first 2 shown]
	v_mul_f32_e32 v55, 0xbf27a4f4, v55
	v_mul_f32_e32 v69, 0xbe11bafb, v60
	v_add_f32_e32 v57, v57, v75
	v_add_f32_e32 v47, v50, v47
	v_sub_f32_e32 v50, v63, v52
	v_add_f32_e32 v9, v21, v9
	v_add_f32_e32 v8, v20, v8
	v_mul_f32_e32 v60, 0xbf75a155, v60
	v_mul_f32_e32 v75, 0xbf4178ce, v67
	v_add_f32_e32 v49, v57, v51
	v_sub_f32_e32 v51, v55, v54
	v_add_f32_e32 v46, v50, v46
	v_sub_f32_e32 v50, v69, v58
	v_add_f32_e32 v9, v23, v9
	v_add_f32_e32 v8, v22, v8
	v_mul_f32_e32 v67, 0x3f7d64f0, v67
	v_mul_f32_e32 v77, 0xbe903f40, v73
	v_add_f32_e32 v48, v51, v48
	v_sub_f32_e32 v51, v60, v61
	v_add_f32_e32 v46, v50, v46
	v_sub_f32_e32 v50, v64, v75
	v_add_f32_e32 v9, v29, v9
	v_add_f32_e32 v8, v28, v8
	v_mul_f32_e32 v73, 0x3f0a6770, v73
	v_add_f32_e32 v48, v51, v48
	v_sub_f32_e32 v51, v68, v67
	v_add_f32_e32 v46, v50, v46
	v_sub_f32_e32 v50, v70, v77
	v_add_f32_e32 v9, v31, v9
	v_add_f32_e32 v8, v30, v8
	;; [unrolled: 1-line block ×3, first 2 shown]
	v_sub_f32_e32 v51, v74, v73
	v_add_f32_e32 v46, v50, v46
	v_add_f32_e32 v5, v5, v9
	;; [unrolled: 1-line block ×3, first 2 shown]
	v_add_lshl_u32 v8, v43, v45, 3
	v_add_f32_e32 v48, v51, v48
	ds_write2_b64 v8, v[4:5], v[46:47] offset1:1
	ds_write2_b64 v8, v[48:49], v[6:7] offset0:2 offset1:3
	ds_write2_b64 v8, v[24:25], v[26:27] offset0:4 offset1:5
	;; [unrolled: 1-line block ×4, first 2 shown]
	ds_write_b64 v8, v[37:38] offset:80
.LBB0_7:
	s_or_b64 exec, exec, s[2:3]
	v_lshlrev_b32_e32 v4, 4, v42
	s_load_dwordx4 s[0:3], s[0:1], 0x0
	s_waitcnt lgkmcnt(0)
	s_barrier
	global_load_dwordx4 v[8:11], v4, s[8:9]
	v_add_lshl_u32 v17, v43, v42, 3
	ds_read2_b64 v[18:21], v17 offset1:11
	ds_read_b64 v[4:5], v17 offset:176
	v_lshl_add_u32 v16, v42, 3, v44
	s_waitcnt vmcnt(0) lgkmcnt(1)
	v_mul_f32_e32 v12, v21, v9
	v_mul_f32_e32 v13, v20, v9
	s_waitcnt lgkmcnt(0)
	v_mul_f32_e32 v14, v5, v11
	v_mul_f32_e32 v15, v4, v11
	v_fma_f32 v12, v20, v8, -v12
	v_fmac_f32_e32 v13, v21, v8
	v_fma_f32 v4, v4, v10, -v14
	v_fmac_f32_e32 v15, v5, v10
	v_add_f32_e32 v5, v18, v12
	v_add_f32_e32 v14, v12, v4
	;; [unrolled: 1-line block ×4, first 2 shown]
	v_sub_f32_e32 v23, v12, v4
	v_add_f32_e32 v12, v5, v4
	v_fma_f32 v4, -0.5, v14, v18
	v_fma_f32 v5, -0.5, v22, v19
	v_sub_f32_e32 v20, v13, v15
	v_add_f32_e32 v13, v21, v15
	v_mov_b32_e32 v14, v4
	v_mov_b32_e32 v15, v5
	v_fmac_f32_e32 v4, 0xbf5db3d7, v20
	v_fmac_f32_e32 v5, 0x3f5db3d7, v23
	;; [unrolled: 1-line block ×4, first 2 shown]
	ds_write_b64 v16, v[4:5] offset:176
	ds_write2_b64 v16, v[12:13], v[14:15] offset1:11
	s_waitcnt lgkmcnt(0)
	s_barrier
	s_and_saveexec_b64 s[4:5], vcc
	s_cbranch_execz .LBB0_9
; %bb.8:
	global_load_dwordx2 v[22:23], v40, s[6:7] offset:264
	s_add_u32 s8, s6, 0x108
	s_addc_u32 s9, s7, 0
	global_load_dwordx2 v[58:59], v40, s[8:9] offset:24
	global_load_dwordx2 v[60:61], v40, s[8:9] offset:48
	;; [unrolled: 1-line block ×10, first 2 shown]
	ds_read2_b64 v[18:21], v16 offset1:3
	ds_read2_b64 v[28:31], v16 offset0:6 offset1:9
	ds_read2_b64 v[46:49], v16 offset0:12 offset1:15
	ds_read2_b64 v[50:53], v16 offset0:18 offset1:21
	ds_read2_b64 v[54:57], v16 offset0:24 offset1:27
	ds_read_b64 v[78:79], v16 offset:240
	s_waitcnt vmcnt(7) lgkmcnt(4)
	v_mul_f32_e32 v82, v31, v63
	s_waitcnt vmcnt(6) lgkmcnt(3)
	v_mul_f32_e32 v83, v47, v65
	s_waitcnt vmcnt(5)
	v_mul_f32_e32 v84, v49, v67
	s_waitcnt vmcnt(4) lgkmcnt(2)
	v_mul_f32_e32 v85, v51, v69
	v_mul_f32_e32 v80, v19, v23
	;; [unrolled: 1-line block ×3, first 2 shown]
	v_fma_f32 v80, v18, v22, -v80
	v_fmac_f32_e32 v81, v19, v22
	v_mul_f32_e32 v18, v21, v59
	v_mul_f32_e32 v19, v20, v59
	;; [unrolled: 1-line block ×8, first 2 shown]
	s_waitcnt vmcnt(3)
	v_mul_f32_e32 v86, v53, v71
	v_mul_f32_e32 v67, v52, v71
	s_waitcnt vmcnt(2) lgkmcnt(1)
	v_mul_f32_e32 v87, v55, v73
	v_mul_f32_e32 v69, v54, v73
	s_waitcnt vmcnt(1)
	v_mul_f32_e32 v88, v57, v75
	v_mul_f32_e32 v71, v56, v75
	s_waitcnt vmcnt(0) lgkmcnt(0)
	v_mul_f32_e32 v75, v79, v77
	v_mul_f32_e32 v73, v78, v77
	v_fma_f32 v18, v20, v58, -v18
	v_fmac_f32_e32 v19, v21, v58
	v_fma_f32 v21, v28, v60, -v23
	v_fmac_f32_e32 v22, v29, v60
	v_fma_f32 v58, v30, v62, -v82
	v_fmac_f32_e32 v59, v31, v62
	v_fma_f32 v60, v46, v64, -v83
	v_fmac_f32_e32 v61, v47, v64
	v_fma_f32 v62, v48, v66, -v84
	v_fmac_f32_e32 v63, v49, v66
	v_fma_f32 v64, v50, v68, -v85
	v_fmac_f32_e32 v65, v51, v68
	v_fma_f32 v66, v52, v70, -v86
	v_fmac_f32_e32 v67, v53, v70
	v_fma_f32 v68, v54, v72, -v87
	v_fmac_f32_e32 v69, v55, v72
	v_fma_f32 v70, v56, v74, -v88
	v_fmac_f32_e32 v71, v57, v74
	v_fma_f32 v72, v78, v76, -v75
	v_fmac_f32_e32 v73, v79, v76
	ds_write2_b64 v16, v[80:81], v[18:19] offset1:3
	ds_write2_b64 v16, v[21:22], v[58:59] offset0:6 offset1:9
	ds_write2_b64 v16, v[60:61], v[62:63] offset0:12 offset1:15
	ds_write2_b64 v16, v[64:65], v[66:67] offset0:18 offset1:21
	ds_write2_b64 v16, v[68:69], v[70:71] offset0:24 offset1:27
	ds_write_b64 v16, v[72:73] offset:240
.LBB0_9:
	s_or_b64 exec, exec, s[4:5]
	s_waitcnt lgkmcnt(0)
	s_barrier
	s_and_saveexec_b64 s[4:5], vcc
	s_cbranch_execz .LBB0_11
; %bb.10:
	ds_read2_b64 v[12:15], v16 offset1:3
	ds_read2_b64 v[4:7], v16 offset0:6 offset1:9
	ds_read2_b64 v[24:27], v16 offset0:12 offset1:15
	;; [unrolled: 1-line block ×4, first 2 shown]
	ds_read_b64 v[37:38], v16 offset:240
.LBB0_11:
	s_or_b64 exec, exec, s[4:5]
	s_waitcnt lgkmcnt(0)
	s_barrier
	s_and_saveexec_b64 s[4:5], vcc
	s_cbranch_execz .LBB0_13
; %bb.12:
	v_add_f32_e32 v30, v38, v15
	v_mul_f32_e32 v46, 0xbf75a155, v30
	v_add_f32_e32 v31, v3, v5
	v_sub_f32_e32 v47, v14, v37
	v_mov_b32_e32 v18, v46
	v_mul_f32_e32 v48, 0x3f575c64, v31
	v_fmac_f32_e32 v18, 0x3e903f40, v47
	v_sub_f32_e32 v49, v4, v2
	v_mov_b32_e32 v19, v48
	v_add_f32_e32 v50, v1, v7
	v_add_f32_e32 v18, v13, v18
	v_fmac_f32_e32 v19, 0xbf0a6770, v49
	v_mul_f32_e32 v51, 0xbf27a4f4, v50
	v_add_f32_e32 v18, v19, v18
	v_sub_f32_e32 v52, v6, v0
	v_mov_b32_e32 v19, v51
	v_sub_f32_e32 v54, v24, v34
	v_fmac_f32_e32 v19, 0x3f4178ce, v52
	v_add_f32_e32 v53, v25, v35
	v_mul_f32_e32 v55, 0x3f68dda4, v54
	s_mov_b32 s11, 0x3ed4b147
	v_sub_f32_e32 v57, v26, v32
	v_add_f32_e32 v18, v19, v18
	v_fma_f32 v19, v53, s11, -v55
	v_add_f32_e32 v56, v27, v33
	v_mul_f32_e32 v58, 0xbf7d64f0, v57
	s_mov_b32 s14, 0xbe11bafb
	v_sub_f32_e32 v60, v15, v38
	v_add_f32_e32 v18, v19, v18
	v_fma_f32 v19, v56, s14, -v58
	v_mul_f32_e32 v61, 0xbe903f40, v60
	v_sub_f32_e32 v63, v5, v3
	v_add_f32_e32 v19, v19, v18
	v_add_f32_e32 v59, v37, v14
	v_mov_b32_e32 v18, v61
	v_mul_f32_e32 v64, 0x3f0a6770, v63
	v_fmac_f32_e32 v18, 0xbf75a155, v59
	v_add_f32_e32 v62, v2, v4
	v_mov_b32_e32 v20, v64
	v_sub_f32_e32 v66, v7, v1
	v_add_f32_e32 v18, v12, v18
	v_fmac_f32_e32 v20, 0x3f575c64, v62
	v_mul_f32_e32 v67, 0xbf4178ce, v66
	v_add_f32_e32 v18, v20, v18
	v_add_f32_e32 v65, v0, v6
	v_mov_b32_e32 v20, v67
	v_sub_f32_e32 v69, v25, v35
	v_fmac_f32_e32 v20, 0xbf27a4f4, v65
	v_mul_f32_e32 v70, 0x3f68dda4, v69
	v_add_f32_e32 v18, v20, v18
	v_add_f32_e32 v68, v24, v34
	v_mov_b32_e32 v20, v70
	v_sub_f32_e32 v72, v27, v33
	v_fmac_f32_e32 v20, 0x3ed4b147, v68
	v_mul_f32_e32 v73, 0xbf7d64f0, v72
	v_add_f32_e32 v18, v20, v18
	v_add_f32_e32 v71, v26, v32
	v_mov_b32_e32 v20, v73
	v_fmac_f32_e32 v20, 0xbe11bafb, v71
	v_mul_f32_e32 v74, 0xbf27a4f4, v30
	v_add_f32_e32 v18, v20, v18
	v_mov_b32_e32 v20, v74
	v_mul_f32_e32 v75, 0xbe11bafb, v31
	v_fmac_f32_e32 v20, 0x3f4178ce, v47
	v_mov_b32_e32 v21, v75
	v_add_f32_e32 v20, v13, v20
	v_fmac_f32_e32 v21, 0xbf7d64f0, v49
	v_mul_f32_e32 v76, 0x3f575c64, v50
	v_add_f32_e32 v20, v21, v20
	v_mov_b32_e32 v21, v76
	s_mov_b32 s8, 0xbf75a155
	v_fmac_f32_e32 v21, 0x3f0a6770, v52
	v_mul_f32_e32 v77, 0xbe903f40, v54
	v_add_f32_e32 v20, v21, v20
	v_fma_f32 v21, v53, s8, -v77
	v_mul_f32_e32 v78, 0x3f68dda4, v57
	v_add_f32_e32 v20, v21, v20
	v_fma_f32 v21, v56, s11, -v78
	v_mul_f32_e32 v79, 0xbf4178ce, v60
	v_add_f32_e32 v21, v21, v20
	v_mov_b32_e32 v20, v79
	v_mul_f32_e32 v80, 0x3f7d64f0, v63
	v_fmac_f32_e32 v20, 0xbf27a4f4, v59
	v_mov_b32_e32 v22, v80
	v_add_f32_e32 v20, v12, v20
	v_fmac_f32_e32 v22, 0xbe11bafb, v62
	v_mul_f32_e32 v81, 0xbf0a6770, v66
	v_add_f32_e32 v20, v22, v20
	v_mov_b32_e32 v22, v81
	v_fmac_f32_e32 v22, 0x3f575c64, v65
	v_mul_f32_e32 v82, 0xbe903f40, v69
	v_add_f32_e32 v15, v15, v13
	v_add_f32_e32 v20, v22, v20
	v_mov_b32_e32 v22, v82
	v_add_f32_e32 v5, v5, v15
	v_fmac_f32_e32 v22, 0xbf75a155, v68
	v_mul_f32_e32 v83, 0x3f68dda4, v72
	v_add_f32_e32 v5, v7, v5
	v_add_f32_e32 v20, v22, v20
	v_mov_b32_e32 v22, v83
	v_add_f32_e32 v5, v25, v5
	v_fmac_f32_e32 v22, 0x3ed4b147, v71
	v_mul_f32_e32 v84, 0xbe11bafb, v30
	v_add_f32_e32 v5, v27, v5
	v_add_f32_e32 v20, v22, v20
	v_mov_b32_e32 v22, v84
	v_mul_f32_e32 v85, 0xbf75a155, v31
	v_add_f32_e32 v5, v33, v5
	v_fmac_f32_e32 v22, 0x3f7d64f0, v47
	v_mov_b32_e32 v23, v85
	v_add_f32_e32 v5, v35, v5
	v_add_f32_e32 v22, v13, v22
	v_fmac_f32_e32 v23, 0xbe903f40, v49
	v_mul_f32_e32 v86, 0x3ed4b147, v50
	v_add_f32_e32 v1, v1, v5
	v_add_f32_e32 v22, v23, v22
	v_mov_b32_e32 v23, v86
	v_add_f32_e32 v1, v3, v1
	v_add_f32_e32 v3, v14, v12
	s_mov_b32 s9, 0x3f575c64
	v_fmac_f32_e32 v23, 0xbf68dda4, v52
	v_mul_f32_e32 v87, 0xbf0a6770, v54
	v_add_f32_e32 v3, v4, v3
	s_mov_b32 s10, 0xbf27a4f4
	v_add_f32_e32 v22, v23, v22
	v_fma_f32 v23, v53, s9, -v87
	v_mul_f32_e32 v88, 0xbf4178ce, v57
	v_add_f32_e32 v3, v6, v3
	v_add_f32_e32 v22, v23, v22
	v_fma_f32 v23, v56, s10, -v88
	v_mul_f32_e32 v89, 0xbf7d64f0, v60
	v_add_f32_e32 v3, v24, v3
	v_add_f32_e32 v23, v23, v22
	v_mov_b32_e32 v22, v89
	v_mul_f32_e32 v90, 0x3e903f40, v63
	v_add_f32_e32 v3, v26, v3
	v_fmac_f32_e32 v22, 0xbe11bafb, v59
	v_mov_b32_e32 v28, v90
	v_add_f32_e32 v3, v32, v3
	v_add_f32_e32 v22, v12, v22
	v_fmac_f32_e32 v28, 0xbf75a155, v62
	v_mul_f32_e32 v91, 0x3f68dda4, v66
	v_add_f32_e32 v3, v34, v3
	v_add_f32_e32 v22, v28, v22
	v_mov_b32_e32 v28, v91
	v_add_f32_e32 v0, v0, v3
	v_fmac_f32_e32 v46, 0xbe903f40, v47
	v_fmac_f32_e32 v28, 0x3ed4b147, v65
	v_mul_f32_e32 v92, 0xbf0a6770, v69
	v_add_f32_e32 v0, v2, v0
	v_add_f32_e32 v2, v13, v46
	v_fmac_f32_e32 v48, 0x3f0a6770, v49
	v_add_f32_e32 v22, v28, v22
	v_mov_b32_e32 v28, v92
	v_add_f32_e32 v2, v48, v2
	v_fmac_f32_e32 v51, 0xbf4178ce, v52
	v_fmac_f32_e32 v28, 0x3f575c64, v68
	v_mul_f32_e32 v93, 0xbf4178ce, v72
	v_add_f32_e32 v2, v51, v2
	v_fmac_f32_e32 v55, 0x3ed4b147, v53
	v_add_f32_e32 v22, v28, v22
	v_mov_b32_e32 v28, v93
	v_add_f32_e32 v2, v55, v2
	v_fmac_f32_e32 v58, 0xbe11bafb, v56
	v_fmac_f32_e32 v28, 0xbf27a4f4, v71
	v_mul_f32_e32 v94, 0x3ed4b147, v30
	v_add_f32_e32 v3, v58, v2
	v_fma_f32 v2, v59, s8, -v61
	v_add_f32_e32 v22, v28, v22
	v_mov_b32_e32 v28, v94
	v_mul_f32_e32 v95, 0xbf27a4f4, v31
	v_add_f32_e32 v2, v12, v2
	v_fma_f32 v4, v62, s9, -v64
	v_fmac_f32_e32 v28, 0x3f68dda4, v47
	v_mov_b32_e32 v29, v95
	v_add_f32_e32 v2, v4, v2
	v_fma_f32 v4, v65, s10, -v67
	v_add_f32_e32 v28, v13, v28
	v_fmac_f32_e32 v29, 0x3f4178ce, v49
	v_mul_f32_e32 v96, 0xbf75a155, v50
	v_add_f32_e32 v2, v4, v2
	v_fma_f32 v4, v68, s11, -v70
	v_add_f32_e32 v28, v29, v28
	v_mov_b32_e32 v29, v96
	v_add_f32_e32 v2, v4, v2
	v_fma_f32 v4, v71, s14, -v73
	v_fmac_f32_e32 v74, 0xbf4178ce, v47
	v_fmac_f32_e32 v29, 0xbe903f40, v52
	v_mul_f32_e32 v97, 0x3f7d64f0, v54
	v_add_f32_e32 v2, v4, v2
	v_add_f32_e32 v4, v13, v74
	v_fmac_f32_e32 v75, 0x3f7d64f0, v49
	v_add_f32_e32 v28, v29, v28
	v_fma_f32 v29, v53, s14, -v97
	v_mul_f32_e32 v98, 0x3f0a6770, v57
	v_add_f32_e32 v4, v75, v4
	v_fmac_f32_e32 v76, 0xbf0a6770, v52
	v_add_f32_e32 v28, v29, v28
	v_fma_f32 v29, v56, s9, -v98
	v_mul_f32_e32 v99, 0xbf68dda4, v60
	v_add_f32_e32 v4, v76, v4
	v_fmac_f32_e32 v77, 0xbf75a155, v53
	v_add_f32_e32 v29, v29, v28
	v_mov_b32_e32 v28, v99
	v_mul_f32_e32 v100, 0xbf4178ce, v63
	v_add_f32_e32 v4, v77, v4
	v_fmac_f32_e32 v78, 0x3ed4b147, v56
	v_fmac_f32_e32 v28, 0x3ed4b147, v59
	v_mov_b32_e32 v101, v100
	v_add_f32_e32 v5, v78, v4
	v_fma_f32 v4, v59, s10, -v79
	v_add_f32_e32 v28, v12, v28
	v_fmac_f32_e32 v101, 0xbf27a4f4, v62
	v_add_f32_e32 v4, v12, v4
	v_fma_f32 v6, v62, s14, -v80
	v_add_f32_e32 v28, v101, v28
	v_mul_f32_e32 v101, 0x3e903f40, v66
	v_add_f32_e32 v4, v6, v4
	v_fma_f32 v6, v65, s9, -v81
	v_mov_b32_e32 v102, v101
	v_add_f32_e32 v4, v6, v4
	v_fma_f32 v6, v68, s8, -v82
	v_fmac_f32_e32 v102, 0xbf75a155, v65
	v_add_f32_e32 v4, v6, v4
	v_fma_f32 v6, v71, s11, -v83
	v_fmac_f32_e32 v84, 0xbf7d64f0, v47
	v_add_f32_e32 v28, v102, v28
	v_mul_f32_e32 v102, 0x3f7d64f0, v69
	v_add_f32_e32 v4, v6, v4
	v_add_f32_e32 v6, v13, v84
	v_fmac_f32_e32 v85, 0x3e903f40, v49
	v_mov_b32_e32 v103, v102
	v_add_f32_e32 v6, v85, v6
	v_fmac_f32_e32 v86, 0x3f68dda4, v52
	v_fmac_f32_e32 v103, 0xbe11bafb, v68
	v_add_f32_e32 v6, v86, v6
	v_fmac_f32_e32 v87, 0x3f575c64, v53
	v_add_f32_e32 v28, v103, v28
	v_mul_f32_e32 v103, 0x3f0a6770, v72
	v_add_f32_e32 v6, v87, v6
	v_fmac_f32_e32 v88, 0xbf27a4f4, v56
	v_mov_b32_e32 v104, v103
	v_add_f32_e32 v7, v88, v6
	v_fma_f32 v6, v59, s14, -v89
	v_fmac_f32_e32 v104, 0x3f575c64, v71
	v_add_f32_e32 v6, v12, v6
	v_fma_f32 v14, v62, s8, -v90
	v_add_f32_e32 v28, v104, v28
	v_mul_f32_e32 v104, 0x3f575c64, v30
	v_add_f32_e32 v6, v14, v6
	v_fma_f32 v14, v65, s11, -v91
	v_mov_b32_e32 v30, v104
	v_mul_f32_e32 v105, 0x3ed4b147, v31
	v_add_f32_e32 v6, v14, v6
	v_fma_f32 v14, v68, s9, -v92
	v_fmac_f32_e32 v30, 0x3f0a6770, v47
	v_mov_b32_e32 v31, v105
	v_add_f32_e32 v6, v14, v6
	v_fma_f32 v14, v71, s10, -v93
	v_fmac_f32_e32 v94, 0xbf68dda4, v47
	v_add_f32_e32 v30, v13, v30
	v_fmac_f32_e32 v31, 0x3f68dda4, v49
	v_mul_f32_e32 v50, 0xbe11bafb, v50
	v_add_f32_e32 v6, v14, v6
	v_add_f32_e32 v14, v13, v94
	v_fmac_f32_e32 v95, 0xbf4178ce, v49
	v_add_f32_e32 v30, v31, v30
	v_mov_b32_e32 v31, v50
	v_add_f32_e32 v14, v95, v14
	v_fmac_f32_e32 v96, 0x3e903f40, v52
	v_fmac_f32_e32 v31, 0x3f7d64f0, v52
	v_mul_f32_e32 v54, 0xbf4178ce, v54
	v_add_f32_e32 v14, v96, v14
	v_fmac_f32_e32 v97, 0xbe11bafb, v53
	v_add_f32_e32 v30, v31, v30
	v_fma_f32 v31, v53, s10, -v54
	v_mul_f32_e32 v57, 0xbe903f40, v57
	v_add_f32_e32 v14, v97, v14
	v_fmac_f32_e32 v98, 0x3f575c64, v56
	v_add_f32_e32 v30, v31, v30
	v_fma_f32 v31, v56, s8, -v57
	v_mul_f32_e32 v60, 0xbf0a6770, v60
	v_add_f32_e32 v15, v98, v14
	v_fma_f32 v14, v59, s11, -v99
	v_add_f32_e32 v31, v31, v30
	v_mov_b32_e32 v30, v60
	v_mul_f32_e32 v63, 0xbf68dda4, v63
	v_add_f32_e32 v14, v12, v14
	v_fma_f32 v24, v62, s10, -v100
	v_fmac_f32_e32 v30, 0x3f575c64, v59
	v_mov_b32_e32 v106, v63
	v_add_f32_e32 v14, v24, v14
	v_fma_f32 v24, v65, s8, -v101
	v_add_f32_e32 v30, v12, v30
	v_fmac_f32_e32 v106, 0x3ed4b147, v62
	v_mul_f32_e32 v66, 0xbf7d64f0, v66
	v_add_f32_e32 v14, v24, v14
	v_fma_f32 v24, v68, s14, -v102
	v_add_f32_e32 v30, v106, v30
	v_mov_b32_e32 v106, v66
	v_add_f32_e32 v14, v24, v14
	v_fma_f32 v24, v71, s9, -v103
	v_fmac_f32_e32 v106, 0xbe11bafb, v65
	v_mul_f32_e32 v69, 0xbf4178ce, v69
	v_add_f32_e32 v14, v24, v14
	v_fma_f32 v24, v59, s9, -v60
	v_add_f32_e32 v30, v106, v30
	v_mov_b32_e32 v106, v69
	v_fmac_f32_e32 v104, 0xbf0a6770, v47
	v_add_f32_e32 v12, v12, v24
	v_fma_f32 v24, v62, s11, -v63
	v_fmac_f32_e32 v106, 0xbf27a4f4, v68
	v_mul_f32_e32 v72, 0xbe903f40, v72
	v_add_f32_e32 v13, v13, v104
	v_fmac_f32_e32 v105, 0xbf68dda4, v49
	v_add_f32_e32 v12, v24, v12
	v_fma_f32 v24, v65, s14, -v66
	v_add_f32_e32 v30, v106, v30
	v_mov_b32_e32 v106, v72
	v_add_f32_e32 v13, v105, v13
	v_fmac_f32_e32 v50, 0xbf7d64f0, v52
	v_add_f32_e32 v12, v24, v12
	v_fma_f32 v24, v68, s10, -v69
	v_fmac_f32_e32 v106, 0xbf75a155, v71
	v_add_f32_e32 v13, v50, v13
	v_fmac_f32_e32 v54, 0xbf27a4f4, v53
	v_add_f32_e32 v12, v24, v12
	v_fma_f32 v24, v71, s8, -v72
	v_add_f32_e32 v30, v106, v30
	v_add_f32_e32 v1, v38, v1
	;; [unrolled: 1-line block ×4, first 2 shown]
	v_fmac_f32_e32 v57, 0xbf75a155, v56
	v_add_f32_e32 v12, v24, v12
	v_lshl_add_u32 v24, v45, 3, v44
	v_add_f32_e32 v13, v57, v13
	ds_write2_b64 v24, v[0:1], v[30:31] offset1:1
	ds_write2_b64 v24, v[28:29], v[22:23] offset0:2 offset1:3
	ds_write2_b64 v24, v[20:21], v[18:19] offset0:4 offset1:5
	;; [unrolled: 1-line block ×4, first 2 shown]
	ds_write_b64 v24, v[12:13] offset:80
.LBB0_13:
	s_or_b64 exec, exec, s[4:5]
	s_waitcnt lgkmcnt(0)
	s_barrier
	ds_read2_b64 v[0:3], v17 offset1:11
	ds_read_b64 v[4:5], v17 offset:176
	s_waitcnt lgkmcnt(1)
	v_mul_f32_e32 v6, v9, v3
	v_fmac_f32_e32 v6, v8, v2
	v_mul_f32_e32 v2, v9, v2
	v_fma_f32 v7, v8, v3, -v2
	s_waitcnt lgkmcnt(0)
	v_mul_f32_e32 v8, v11, v5
	v_fmac_f32_e32 v8, v10, v4
	v_mul_f32_e32 v2, v11, v4
	v_add_f32_e32 v3, v6, v8
	v_fma_f32 v5, v10, v5, -v2
	v_add_f32_e32 v2, v0, v6
	v_fma_f32 v0, -0.5, v3, v0
	v_sub_f32_e32 v3, v7, v5
	v_mov_b32_e32 v4, v0
	v_fmac_f32_e32 v4, 0xbf5db3d7, v3
	v_fmac_f32_e32 v0, 0x3f5db3d7, v3
	v_add_f32_e32 v3, v1, v7
	v_add_f32_e32 v3, v3, v5
	;; [unrolled: 1-line block ×3, first 2 shown]
	v_fma_f32 v1, -0.5, v5, v1
	v_sub_f32_e32 v6, v6, v8
	v_mov_b32_e32 v5, v1
	v_add_f32_e32 v2, v2, v8
	v_fmac_f32_e32 v5, 0x3f5db3d7, v6
	v_fmac_f32_e32 v1, 0xbf5db3d7, v6
	ds_write2_b64 v16, v[2:3], v[4:5] offset1:11
	ds_write_b64 v16, v[0:1] offset:176
	s_waitcnt lgkmcnt(0)
	s_barrier
	s_and_b64 exec, exec, vcc
	s_cbranch_execz .LBB0_15
; %bb.14:
	global_load_dwordx2 v[8:9], v40, s[6:7]
	global_load_dwordx2 v[10:11], v40, s[6:7] offset:24
	global_load_dwordx2 v[12:13], v40, s[6:7] offset:48
	;; [unrolled: 1-line block ×4, first 2 shown]
	v_mad_u64_u32 v[19:20], s[4:5], s2, v36, 0
	ds_read_b64 v[21:22], v16
	v_mad_u64_u32 v[23:24], s[8:9], s0, v42, 0
	v_mov_b32_e32 v16, v20
	v_mov_b32_e32 v34, s13
	;; [unrolled: 1-line block ×3, first 2 shown]
	v_lshl_add_u32 v37, v43, 3, v40
	s_mul_i32 s8, s1, 24
	s_mul_hi_u32 s9, s0, 24
	s_mul_i32 s2, s0, 24
	s_add_i32 s8, s9, s8
	global_load_dwordx2 v[25:26], v40, s[6:7] offset:120
	global_load_dwordx2 v[27:28], v40, s[6:7] offset:144
	;; [unrolled: 1-line block ×3, first 2 shown]
	ds_read2_b64 v[0:3], v37 offset0:3 offset1:6
	ds_read2_b64 v[4:7], v37 offset0:9 offset1:12
	v_mov_b32_e32 v35, s8
	s_mov_b32 s4, 0xf07c1f08
	s_mov_b32 s5, 0x3f9f07c1
	v_mov_b32_e32 v38, s8
	s_waitcnt vmcnt(3)
	v_mad_u64_u32 v[31:32], s[10:11], s3, v36, v[16:17]
	s_waitcnt lgkmcnt(2)
	v_mad_u64_u32 v[32:33], s[10:11], s1, v42, v[20:21]
	v_mov_b32_e32 v20, v31
	v_lshlrev_b64 v[19:20], 3, v[19:20]
	v_mov_b32_e32 v24, v32
	v_lshlrev_b64 v[23:24], 3, v[23:24]
	v_add_co_u32_e32 v42, vcc, s12, v19
	v_addc_co_u32_e32 v43, vcc, v34, v20, vcc
	v_add_co_u32_e32 v19, vcc, v42, v23
	v_addc_co_u32_e32 v20, vcc, v43, v24, vcc
	;; [unrolled: 2-line block ×3, first 2 shown]
	v_mov_b32_e32 v16, s8
	v_add_co_u32_e32 v31, vcc, s2, v23
	v_addc_co_u32_e32 v32, vcc, v24, v16, vcc
	v_mul_f32_e32 v16, v22, v9
	v_mul_f32_e32 v9, v21, v9
	s_waitcnt lgkmcnt(1)
	v_mul_f32_e32 v33, v1, v11
	v_mul_f32_e32 v11, v0, v11
	;; [unrolled: 1-line block ×4, first 2 shown]
	v_fmac_f32_e32 v16, v21, v8
	v_fma_f32 v8, v8, v22, -v9
	s_waitcnt lgkmcnt(0)
	v_mul_f32_e32 v35, v5, v15
	v_mul_f32_e32 v15, v4, v15
	v_fmac_f32_e32 v33, v0, v10
	v_fma_f32 v9, v10, v1, -v11
	v_fmac_f32_e32 v34, v2, v12
	v_fma_f32 v12, v12, v3, -v13
	v_cvt_f64_f32_e32 v[0:1], v16
	v_cvt_f64_f32_e32 v[2:3], v8
	v_fmac_f32_e32 v35, v4, v14
	v_fma_f32 v21, v14, v5, -v15
	v_cvt_f64_f32_e32 v[4:5], v33
	v_cvt_f64_f32_e32 v[8:9], v9
	;; [unrolled: 1-line block ×4, first 2 shown]
	v_mul_f64 v[0:1], v[0:1], s[4:5]
	v_mul_f64 v[2:3], v[2:3], s[4:5]
	;; [unrolled: 1-line block ×6, first 2 shown]
	v_mul_f32_e32 v36, v7, v18
	v_fmac_f32_e32 v36, v6, v17
	v_cvt_f32_f64_e32 v0, v[0:1]
	v_cvt_f32_f64_e32 v1, v[2:3]
	;; [unrolled: 1-line block ×6, first 2 shown]
	v_cvt_f64_f32_e32 v[14:15], v35
	v_cvt_f64_f32_e32 v[33:34], v36
	global_load_dwordx2 v[35:36], v40, s[6:7] offset:192
	s_nop 0
	global_store_dwordx2 v[19:20], v[0:1], off
	global_store_dwordx2 v[23:24], v[2:3], off
	;; [unrolled: 1-line block ×3, first 2 shown]
	global_load_dwordx2 v[10:11], v40, s[6:7] offset:216
	v_mul_f32_e32 v2, v6, v18
	v_fma_f32 v2, v17, v7, -v2
	global_load_dwordx2 v[17:18], v40, s[6:7] offset:240
	v_cvt_f64_f32_e32 v[21:22], v21
	v_mul_f64 v[14:15], v[14:15], s[4:5]
	v_mul_f64 v[0:1], v[33:34], s[4:5]
	v_add_co_u32_e32 v4, vcc, s2, v31
	v_mul_f64 v[21:22], v[21:22], s[4:5]
	v_addc_co_u32_e32 v5, vcc, v32, v38, vcc
	v_cvt_f64_f32_e32 v[6:7], v2
	v_cvt_f32_f64_e32 v8, v[14:15]
	v_cvt_f32_f64_e32 v12, v[0:1]
	ds_read2_b64 v[0:3], v37 offset0:15 offset1:18
	v_mul_f64 v[6:7], v[6:7], s[4:5]
	v_cvt_f32_f64_e32 v9, v[21:22]
	s_mul_i32 s3, s1, 48
	global_store_dwordx2 v[4:5], v[8:9], off
	v_mad_u64_u32 v[8:9], s[10:11], s0, v41, 0
	v_cvt_f32_f64_e32 v13, v[6:7]
	v_mad_u64_u32 v[4:5], s[6:7], s0, 48, v[4:5]
	v_add_u32_e32 v5, s3, v5
	s_waitcnt vmcnt(2)
	v_mad_u64_u32 v[14:15], s[10:11], s1, v41, v[9:10]
	s_waitcnt lgkmcnt(0)
	v_mul_f32_e32 v9, v1, v26
	v_fmac_f32_e32 v9, v0, v25
	v_mul_f32_e32 v0, v0, v26
	v_fma_f32 v0, v25, v1, -v0
	v_cvt_f64_f32_e32 v[15:16], v9
	v_cvt_f64_f32_e32 v[0:1], v0
	v_mov_b32_e32 v9, v14
	v_lshlrev_b64 v[8:9], 3, v[8:9]
	v_mul_f64 v[6:7], v[15:16], s[4:5]
	v_mul_f64 v[0:1], v[0:1], s[4:5]
	v_add_co_u32_e32 v8, vcc, v42, v8
	v_addc_co_u32_e32 v9, vcc, v43, v9, vcc
	global_store_dwordx2 v[8:9], v[12:13], off
	v_mad_u64_u32 v[14:15], s[6:7], s0, v39, 0
	v_cvt_f32_f64_e32 v6, v[6:7]
	v_cvt_f32_f64_e32 v7, v[0:1]
	v_mul_f32_e32 v0, v3, v28
	v_fmac_f32_e32 v0, v2, v27
	v_cvt_f64_f32_e32 v[8:9], v0
	v_mul_f32_e32 v0, v2, v28
	v_fma_f32 v0, v27, v3, -v0
	v_cvt_f64_f32_e32 v[12:13], v0
	ds_read2_b64 v[0:3], v37 offset0:21 offset1:24
	global_store_dwordx2 v[4:5], v[6:7], off
	v_mul_f64 v[6:7], v[8:9], s[4:5]
	v_mul_f64 v[8:9], v[12:13], s[4:5]
	v_add_co_u32_e32 v4, vcc, s2, v4
	s_waitcnt lgkmcnt(0)
	v_mul_f32_e32 v12, v1, v30
	v_fmac_f32_e32 v12, v0, v29
	v_cvt_f64_f32_e32 v[12:13], v12
	v_mul_f32_e32 v0, v0, v30
	v_cvt_f32_f64_e32 v6, v[6:7]
	v_cvt_f32_f64_e32 v7, v[8:9]
	v_mul_f64 v[8:9], v[12:13], s[4:5]
	v_mov_b32_e32 v12, s8
	v_addc_co_u32_e32 v5, vcc, v5, v12, vcc
	global_store_dwordx2 v[4:5], v[6:7], off
	v_mov_b32_e32 v6, s8
	v_add_co_u32_e32 v12, vcc, s2, v4
	v_addc_co_u32_e32 v13, vcc, v5, v6, vcc
	ds_read2_b64 v[4:7], v37 offset0:27 offset1:30
	v_fma_f32 v0, v29, v1, -v0
	v_cvt_f64_f32_e32 v[0:1], v0
	v_cvt_f32_f64_e32 v8, v[8:9]
	s_waitcnt lgkmcnt(0)
	v_mul_f32_e32 v16, v5, v11
	v_fmac_f32_e32 v16, v4, v10
	v_mul_f32_e32 v4, v4, v11
	v_fma_f32 v4, v10, v5, -v4
	v_mul_f64 v[0:1], v[0:1], s[4:5]
	v_cvt_f64_f32_e32 v[4:5], v4
	v_cvt_f64_f32_e32 v[19:20], v16
	v_mov_b32_e32 v10, v15
	v_mad_u64_u32 v[10:11], s[6:7], s1, v39, v[10:11]
	v_mul_f64 v[4:5], v[4:5], s[4:5]
	v_mul_f64 v[19:20], v[19:20], s[4:5]
	v_cvt_f32_f64_e32 v9, v[0:1]
	v_mul_f32_e32 v0, v3, v36
	v_fmac_f32_e32 v0, v2, v35
	v_mul_f32_e32 v2, v2, v36
	v_fma_f32 v2, v35, v3, -v2
	v_cvt_f64_f32_e32 v[0:1], v0
	v_cvt_f64_f32_e32 v[2:3], v2
	global_store_dwordx2 v[12:13], v[8:9], off
	v_cvt_f32_f64_e32 v9, v[4:5]
	s_waitcnt vmcnt(5)
	v_mul_f32_e32 v4, v7, v18
	v_fmac_f32_e32 v4, v6, v17
	v_mul_f32_e32 v6, v6, v18
	v_fma_f32 v6, v17, v7, -v6
	v_mul_f64 v[0:1], v[0:1], s[4:5]
	v_mul_f64 v[2:3], v[2:3], s[4:5]
	v_cvt_f64_f32_e32 v[4:5], v4
	v_cvt_f64_f32_e32 v[6:7], v6
	v_mov_b32_e32 v15, v10
	v_mad_u64_u32 v[10:11], s[0:1], s0, 48, v[12:13]
	v_mul_f64 v[4:5], v[4:5], s[4:5]
	v_mul_f64 v[6:7], v[6:7], s[4:5]
	v_cvt_f32_f64_e32 v0, v[0:1]
	v_cvt_f32_f64_e32 v1, v[2:3]
	v_lshlrev_b64 v[2:3], 3, v[14:15]
	v_cvt_f32_f64_e32 v8, v[19:20]
	v_add_co_u32_e32 v2, vcc, v42, v2
	v_addc_co_u32_e32 v3, vcc, v43, v3, vcc
	global_store_dwordx2 v[2:3], v[0:1], off
	v_cvt_f32_f64_e32 v0, v[4:5]
	v_cvt_f32_f64_e32 v1, v[6:7]
	v_add_u32_e32 v11, s3, v11
	v_mov_b32_e32 v3, s8
	v_add_co_u32_e32 v2, vcc, s2, v10
	v_addc_co_u32_e32 v3, vcc, v11, v3, vcc
	global_store_dwordx2 v[10:11], v[8:9], off
	global_store_dwordx2 v[2:3], v[0:1], off
.LBB0_15:
	s_endpgm
	.section	.rodata,"a",@progbits
	.p2align	6, 0x0
	.amdhsa_kernel bluestein_single_fwd_len33_dim1_sp_op_CI_CI
		.amdhsa_group_segment_fixed_size 6072
		.amdhsa_private_segment_fixed_size 0
		.amdhsa_kernarg_size 104
		.amdhsa_user_sgpr_count 6
		.amdhsa_user_sgpr_private_segment_buffer 1
		.amdhsa_user_sgpr_dispatch_ptr 0
		.amdhsa_user_sgpr_queue_ptr 0
		.amdhsa_user_sgpr_kernarg_segment_ptr 1
		.amdhsa_user_sgpr_dispatch_id 0
		.amdhsa_user_sgpr_flat_scratch_init 0
		.amdhsa_user_sgpr_private_segment_size 0
		.amdhsa_uses_dynamic_stack 0
		.amdhsa_system_sgpr_private_segment_wavefront_offset 0
		.amdhsa_system_sgpr_workgroup_id_x 1
		.amdhsa_system_sgpr_workgroup_id_y 0
		.amdhsa_system_sgpr_workgroup_id_z 0
		.amdhsa_system_sgpr_workgroup_info 0
		.amdhsa_system_vgpr_workitem_id 0
		.amdhsa_next_free_vgpr 107
		.amdhsa_next_free_sgpr 16
		.amdhsa_reserve_vcc 1
		.amdhsa_reserve_flat_scratch 0
		.amdhsa_float_round_mode_32 0
		.amdhsa_float_round_mode_16_64 0
		.amdhsa_float_denorm_mode_32 3
		.amdhsa_float_denorm_mode_16_64 3
		.amdhsa_dx10_clamp 1
		.amdhsa_ieee_mode 1
		.amdhsa_fp16_overflow 0
		.amdhsa_exception_fp_ieee_invalid_op 0
		.amdhsa_exception_fp_denorm_src 0
		.amdhsa_exception_fp_ieee_div_zero 0
		.amdhsa_exception_fp_ieee_overflow 0
		.amdhsa_exception_fp_ieee_underflow 0
		.amdhsa_exception_fp_ieee_inexact 0
		.amdhsa_exception_int_div_zero 0
	.end_amdhsa_kernel
	.text
.Lfunc_end0:
	.size	bluestein_single_fwd_len33_dim1_sp_op_CI_CI, .Lfunc_end0-bluestein_single_fwd_len33_dim1_sp_op_CI_CI
                                        ; -- End function
	.section	.AMDGPU.csdata,"",@progbits
; Kernel info:
; codeLenInByte = 7316
; NumSgprs: 20
; NumVgprs: 107
; ScratchSize: 0
; MemoryBound: 0
; FloatMode: 240
; IeeeMode: 1
; LDSByteSize: 6072 bytes/workgroup (compile time only)
; SGPRBlocks: 2
; VGPRBlocks: 26
; NumSGPRsForWavesPerEU: 20
; NumVGPRsForWavesPerEU: 107
; Occupancy: 2
; WaveLimiterHint : 1
; COMPUTE_PGM_RSRC2:SCRATCH_EN: 0
; COMPUTE_PGM_RSRC2:USER_SGPR: 6
; COMPUTE_PGM_RSRC2:TRAP_HANDLER: 0
; COMPUTE_PGM_RSRC2:TGID_X_EN: 1
; COMPUTE_PGM_RSRC2:TGID_Y_EN: 0
; COMPUTE_PGM_RSRC2:TGID_Z_EN: 0
; COMPUTE_PGM_RSRC2:TIDIG_COMP_CNT: 0
	.type	__hip_cuid_29bcc695e9d1560,@object ; @__hip_cuid_29bcc695e9d1560
	.section	.bss,"aw",@nobits
	.globl	__hip_cuid_29bcc695e9d1560
__hip_cuid_29bcc695e9d1560:
	.byte	0                               ; 0x0
	.size	__hip_cuid_29bcc695e9d1560, 1

	.ident	"AMD clang version 19.0.0git (https://github.com/RadeonOpenCompute/llvm-project roc-6.4.0 25133 c7fe45cf4b819c5991fe208aaa96edf142730f1d)"
	.section	".note.GNU-stack","",@progbits
	.addrsig
	.addrsig_sym __hip_cuid_29bcc695e9d1560
	.amdgpu_metadata
---
amdhsa.kernels:
  - .args:
      - .actual_access:  read_only
        .address_space:  global
        .offset:         0
        .size:           8
        .value_kind:     global_buffer
      - .actual_access:  read_only
        .address_space:  global
        .offset:         8
        .size:           8
        .value_kind:     global_buffer
      - .actual_access:  read_only
        .address_space:  global
        .offset:         16
        .size:           8
        .value_kind:     global_buffer
      - .actual_access:  read_only
        .address_space:  global
        .offset:         24
        .size:           8
        .value_kind:     global_buffer
      - .actual_access:  read_only
        .address_space:  global
        .offset:         32
        .size:           8
        .value_kind:     global_buffer
      - .offset:         40
        .size:           8
        .value_kind:     by_value
      - .address_space:  global
        .offset:         48
        .size:           8
        .value_kind:     global_buffer
      - .address_space:  global
        .offset:         56
        .size:           8
        .value_kind:     global_buffer
      - .address_space:  global
        .offset:         64
        .size:           8
        .value_kind:     global_buffer
      - .address_space:  global
        .offset:         72
        .size:           8
        .value_kind:     global_buffer
      - .offset:         80
        .size:           4
        .value_kind:     by_value
      - .address_space:  global
        .offset:         88
        .size:           8
        .value_kind:     global_buffer
      - .address_space:  global
        .offset:         96
        .size:           8
        .value_kind:     global_buffer
    .group_segment_fixed_size: 6072
    .kernarg_segment_align: 8
    .kernarg_segment_size: 104
    .language:       OpenCL C
    .language_version:
      - 2
      - 0
    .max_flat_workgroup_size: 253
    .name:           bluestein_single_fwd_len33_dim1_sp_op_CI_CI
    .private_segment_fixed_size: 0
    .sgpr_count:     20
    .sgpr_spill_count: 0
    .symbol:         bluestein_single_fwd_len33_dim1_sp_op_CI_CI.kd
    .uniform_work_group_size: 1
    .uses_dynamic_stack: false
    .vgpr_count:     107
    .vgpr_spill_count: 0
    .wavefront_size: 64
amdhsa.target:   amdgcn-amd-amdhsa--gfx906
amdhsa.version:
  - 1
  - 2
...

	.end_amdgpu_metadata
